;; amdgpu-corpus repo=ROCm/rocFFT kind=compiled arch=gfx950 opt=O3
	.text
	.amdgcn_target "amdgcn-amd-amdhsa--gfx950"
	.amdhsa_code_object_version 6
	.protected	bluestein_single_fwd_len750_dim1_sp_op_CI_CI ; -- Begin function bluestein_single_fwd_len750_dim1_sp_op_CI_CI
	.globl	bluestein_single_fwd_len750_dim1_sp_op_CI_CI
	.p2align	8
	.type	bluestein_single_fwd_len750_dim1_sp_op_CI_CI,@function
bluestein_single_fwd_len750_dim1_sp_op_CI_CI: ; @bluestein_single_fwd_len750_dim1_sp_op_CI_CI
; %bb.0:
	s_load_dwordx4 s[12:15], s[0:1], 0x28
	v_mul_u32_u24_e32 v1, 0x107, v0
	v_add_u32_sdwa v38, s2, v1 dst_sel:DWORD dst_unused:UNUSED_PAD src0_sel:DWORD src1_sel:WORD_1
	v_mov_b32_e32 v39, 0
	s_waitcnt lgkmcnt(0)
	v_cmp_gt_u64_e32 vcc, s[12:13], v[38:39]
	s_and_saveexec_b64 s[2:3], vcc
	s_cbranch_execz .LBB0_31
; %bb.1:
	s_load_dwordx2 s[12:13], s[0:1], 0x0
	s_load_dwordx2 s[16:17], s[0:1], 0x38
	s_movk_i32 s2, 0xfa
	v_mul_lo_u16_sdwa v1, v1, s2 dst_sel:DWORD dst_unused:UNUSED_PAD src0_sel:WORD_1 src1_sel:DWORD
	v_sub_u16_e32 v39, v0, v1
	s_movk_i32 s2, 0x4b
	v_cmp_gt_u16_e64 s[6:7], s2, v39
	v_lshlrev_b32_e32 v36, 3, v39
	s_and_saveexec_b64 s[2:3], s[6:7]
	s_cbranch_execz .LBB0_3
; %bb.2:
	s_load_dwordx2 s[4:5], s[0:1], 0x18
	v_mov_b32_e32 v0, s14
	v_mov_b32_e32 v1, s15
	;; [unrolled: 1-line block ×3, first 2 shown]
	s_waitcnt lgkmcnt(0)
	s_load_dwordx4 s[8:11], s[4:5], 0x0
	s_waitcnt lgkmcnt(0)
	v_mad_u64_u32 v[2:3], s[4:5], s10, v38, 0
	v_mad_u64_u32 v[4:5], s[4:5], s8, v39, 0
	v_mov_b32_e32 v6, v3
	v_mov_b32_e32 v8, v5
	v_mad_u64_u32 v[6:7], s[4:5], s11, v38, v[6:7]
	v_mov_b32_e32 v3, v6
	v_mad_u64_u32 v[6:7], s[4:5], s9, v39, v[8:9]
	v_mov_b32_e32 v5, v6
	v_lshl_add_u64 v[0:1], v[2:3], 3, v[0:1]
	v_lshl_add_u64 v[0:1], v[4:5], 3, v[0:1]
	v_lshl_add_u64 v[4:5], s[12:13], 0, v[36:37]
	v_mov_b32_e32 v37, 0x258
	global_load_dwordx2 v[2:3], v[0:1], off
	v_mad_u64_u32 v[0:1], s[4:5], s8, v37, v[0:1]
	s_mulk_i32 s9, 0x258
	v_add_u32_e32 v1, s9, v1
	v_mad_u64_u32 v[10:11], s[4:5], s8, v37, v[0:1]
	v_add_u32_e32 v11, s9, v11
	v_mad_u64_u32 v[12:13], s[4:5], s8, v37, v[10:11]
	;; [unrolled: 2-line block ×3, first 2 shown]
	v_add_u32_e32 v15, s9, v15
	global_load_dwordx2 v[6:7], v36, s[12:13]
	global_load_dwordx2 v[8:9], v36, s[12:13] offset:600
	global_load_dwordx2 v[16:17], v[0:1], off
	global_load_dwordx2 v[18:19], v[10:11], off
	;; [unrolled: 1-line block ×4, first 2 shown]
	global_load_dwordx2 v[24:25], v36, s[12:13] offset:1200
	global_load_dwordx2 v[26:27], v36, s[12:13] offset:1800
	;; [unrolled: 1-line block ×3, first 2 shown]
	v_mad_u64_u32 v[0:1], s[4:5], s8, v37, v[14:15]
	v_add_u32_e32 v1, s9, v1
	global_load_dwordx2 v[10:11], v[0:1], off
	v_mad_u64_u32 v[0:1], s[4:5], s8, v37, v[0:1]
	v_add_u32_e32 v1, s9, v1
	global_load_dwordx2 v[12:13], v[0:1], off
	global_load_dwordx2 v[14:15], v36, s[12:13] offset:3000
	global_load_dwordx2 v[30:31], v36, s[12:13] offset:3600
	v_mad_u64_u32 v[0:1], s[4:5], s8, v37, v[0:1]
	s_movk_i32 s4, 0x1000
	v_add_u32_e32 v1, s9, v1
	v_add_co_u32_e32 v4, vcc, s4, v4
	global_load_dwordx2 v[32:33], v[0:1], off
	s_nop 0
	v_addc_co_u32_e32 v5, vcc, 0, v5, vcc
	v_mad_u64_u32 v[0:1], s[4:5], s8, v37, v[0:1]
	global_load_dwordx2 v[34:35], v[4:5], off offset:104
	v_add_u32_e32 v1, s9, v1
	global_load_dwordx2 v[40:41], v[0:1], off
	global_load_dwordx2 v[42:43], v[4:5], off offset:704
	v_mad_u64_u32 v[0:1], s[4:5], s8, v37, v[0:1]
	v_add_u32_e32 v1, s9, v1
	global_load_dwordx2 v[44:45], v[4:5], off offset:1304
	global_load_dwordx2 v[46:47], v[0:1], off
	v_add_u32_e32 v4, 0x800, v36
	v_add_u32_e32 v5, 0xc00, v36
	s_waitcnt vmcnt(18)
	v_mul_f32_e32 v0, v3, v7
	v_mul_f32_e32 v1, v2, v7
	v_fmac_f32_e32 v0, v2, v6
	v_fma_f32 v1, v3, v6, -v1
	s_waitcnt vmcnt(16)
	v_mul_f32_e32 v2, v17, v9
	v_mul_f32_e32 v3, v16, v9
	v_fmac_f32_e32 v2, v16, v8
	v_fma_f32 v3, v17, v8, -v3
	ds_write2_b64 v36, v[0:1], v[2:3] offset1:75
	s_waitcnt vmcnt(12)
	v_mul_f32_e32 v0, v19, v25
	v_mul_f32_e32 v1, v18, v25
	s_waitcnt vmcnt(11)
	v_mul_f32_e32 v2, v21, v27
	v_mul_f32_e32 v3, v20, v27
	v_fmac_f32_e32 v0, v18, v24
	v_fma_f32 v1, v19, v24, -v1
	v_fmac_f32_e32 v2, v20, v26
	v_fma_f32 v3, v21, v26, -v3
	ds_write2_b64 v36, v[0:1], v[2:3] offset0:150 offset1:225
	s_waitcnt vmcnt(10)
	v_mul_f32_e32 v0, v23, v29
	v_mul_f32_e32 v1, v22, v29
	s_waitcnt vmcnt(7)
	v_mul_f32_e32 v2, v11, v15
	v_mul_f32_e32 v3, v10, v15
	v_fmac_f32_e32 v0, v22, v28
	v_fma_f32 v1, v23, v28, -v1
	v_fmac_f32_e32 v2, v10, v14
	v_fma_f32 v3, v11, v14, -v3
	ds_write2_b64 v4, v[0:1], v[2:3] offset0:44 offset1:119
	;; [unrolled: 11-line block ×3, first 2 shown]
	s_waitcnt vmcnt(2)
	v_mul_f32_e32 v0, v41, v43
	v_mul_f32_e32 v1, v40, v43
	s_waitcnt vmcnt(0)
	v_mul_f32_e32 v2, v47, v45
	v_mul_f32_e32 v3, v46, v45
	v_fmac_f32_e32 v0, v40, v42
	v_fma_f32 v1, v41, v42, -v1
	v_fmac_f32_e32 v2, v46, v44
	v_fma_f32 v3, v47, v44, -v3
	v_add_u32_e32 v4, 0x1000, v36
	ds_write2_b64 v4, v[0:1], v[2:3] offset0:88 offset1:163
.LBB0_3:
	s_or_b64 exec, exec, s[2:3]
	s_waitcnt lgkmcnt(0)
	s_barrier
	s_waitcnt lgkmcnt(0)
                                        ; implicit-def: $vgpr16
                                        ; implicit-def: $vgpr0
                                        ; implicit-def: $vgpr8
                                        ; implicit-def: $vgpr4
                                        ; implicit-def: $vgpr12
	s_and_saveexec_b64 s[2:3], s[6:7]
	s_cbranch_execz .LBB0_5
; %bb.4:
	v_add_u32_e32 v4, 0x800, v36
	ds_read2_b64 v[16:19], v36 offset1:75
	ds_read2_b64 v[0:3], v36 offset0:150 offset1:225
	ds_read2_b64 v[8:11], v4 offset0:44 offset1:119
	v_add_u32_e32 v4, 0xc00, v36
	v_add_u32_e32 v12, 0x1000, v36
	ds_read2_b64 v[4:7], v4 offset0:66 offset1:141
	ds_read2_b64 v[12:15], v12 offset0:88 offset1:163
.LBB0_5:
	s_or_b64 exec, exec, s[2:3]
	s_waitcnt lgkmcnt(3)
	v_pk_add_f32 v[20:21], v[16:17], v[0:1]
	s_waitcnt lgkmcnt(2)
	v_pk_add_f32 v[22:23], v[0:1], v[8:9] neg_lo:[0,1] neg_hi:[0,1]
	s_waitcnt lgkmcnt(0)
	v_pk_add_f32 v[24:25], v[12:13], v[4:5] neg_lo:[0,1] neg_hi:[0,1]
	v_pk_add_f32 v[26:27], v[4:5], v[12:13] neg_lo:[0,1] neg_hi:[0,1]
	v_pk_add_f32 v[22:23], v[22:23], v[24:25]
	v_pk_add_f32 v[24:25], v[8:9], v[0:1] neg_lo:[0,1] neg_hi:[0,1]
	v_pk_add_f32 v[28:29], v[8:9], v[4:5] neg_lo:[0,1] neg_hi:[0,1]
	s_mov_b32 s4, 0x3f737871
	v_pk_add_f32 v[40:41], v[8:9], v[4:5]
	v_pk_add_f32 v[8:9], v[20:21], v[8:9]
	v_pk_add_f32 v[24:25], v[24:25], v[26:27]
	v_pk_add_f32 v[26:27], v[0:1], v[12:13] neg_lo:[0,1] neg_hi:[0,1]
	v_pk_add_f32 v[0:1], v[0:1], v[12:13]
	s_mov_b32 s5, 0xbf737871
	v_pk_add_f32 v[4:5], v[8:9], v[4:5]
	v_pk_fma_f32 v[0:1], v[0:1], 0.5, v[16:17] op_sel_hi:[1,0,1] neg_lo:[1,0,0] neg_hi:[1,0,0]
	v_pk_mul_f32 v[30:31], v[28:29], s[4:5] op_sel_hi:[1,0]
	v_pk_add_f32 v[4:5], v[4:5], v[12:13]
	v_mov_b32_e32 v12, v10
	v_mov_b32_e32 v13, v3
	;; [unrolled: 1-line block ×8, first 2 shown]
	v_pk_add_f32 v[32:33], v[0:1], v[30:31] op_sel:[0,1] op_sel_hi:[1,0] neg_lo:[0,1] neg_hi:[0,1]
	s_mov_b32 s2, 0x3f167918
	v_pk_add_f32 v[0:1], v[30:31], v[0:1] op_sel:[1,0] op_sel_hi:[0,1]
	v_pk_add_f32 v[30:31], v[18:19], v[2:3]
	v_pk_add_f32 v[42:43], v[12:13], v[20:21] neg_lo:[0,1] neg_hi:[0,1]
	v_pk_add_f32 v[44:45], v[12:13], v[20:21]
	v_pk_add_f32 v[12:13], v[48:49], v[12:13] neg_lo:[0,1] neg_hi:[0,1]
	v_pk_add_f32 v[20:21], v[50:51], v[20:21] neg_lo:[0,1] neg_hi:[0,1]
	v_pk_mul_f32 v[34:35], v[26:27], s[2:3] op_sel_hi:[1,0]
	v_pk_add_f32 v[8:9], v[30:31], v[10:11]
	v_pk_add_f32 v[12:13], v[12:13], v[20:21]
	v_mov_b32_e32 v21, v2
	v_mov_b32_e32 v2, v3
	;; [unrolled: 1-line block ×6, first 2 shown]
	v_pk_add_f32 v[32:33], v[34:35], v[32:33] op_sel:[1,0] op_sel_hi:[0,1]
	v_pk_add_f32 v[0:1], v[0:1], v[34:35] op_sel:[0,1] op_sel_hi:[1,0] neg_lo:[0,1] neg_hi:[0,1]
	v_mov_b32_e32 v34, v19
	v_mov_b32_e32 v35, v18
	v_pk_add_f32 v[8:9], v[8:9], v[6:7]
	v_pk_add_f32 v[54:55], v[20:21], v[10:11]
	;; [unrolled: 1-line block ×3, first 2 shown]
	v_pk_add_f32 v[48:49], v[48:49], v[50:51] neg_lo:[0,1] neg_hi:[0,1]
	v_pk_fma_f32 v[34:35], v[54:55], 0.5, v[34:35] op_sel_hi:[1,0,1] neg_lo:[1,0,0] neg_hi:[1,0,0]
	v_mov_b32_e32 v14, v15
	v_mov_b32_e32 v15, v6
	v_pk_fma_f32 v[18:19], v[44:45], 0.5, v[18:19] op_sel_hi:[1,0,1] neg_lo:[1,0,0] neg_hi:[1,0,0]
	v_pk_mul_f32 v[44:45], v[42:43], s[4:5] op_sel_hi:[1,0]
	v_pk_add_f32 v[6:7], v[14:15], v[10:11] neg_lo:[0,1] neg_hi:[0,1]
	v_pk_fma_f32 v[10:11], v[48:49], s[4:5], v[34:35] op_sel_hi:[1,0,1] neg_lo:[1,0,0] neg_hi:[1,0,0]
	v_pk_add_f32 v[46:47], v[18:19], v[44:45] op_sel:[0,1] op_sel_hi:[1,0] neg_lo:[0,1] neg_hi:[0,1]
	v_pk_fma_f32 v[54:55], v[48:49], s[4:5], v[34:35] op_sel_hi:[1,0,1]
	v_pk_add_f32 v[2:3], v[2:3], v[20:21] neg_lo:[0,1] neg_hi:[0,1]
	v_pk_fma_f32 v[14:15], v[42:43], s[2:3], v[10:11] op_sel_hi:[1,0,1] neg_lo:[1,0,0] neg_hi:[1,0,0]
	v_pk_fma_f32 v[10:11], v[42:43], s[2:3], v[10:11] op_sel_hi:[1,0,1]
	s_mov_b32 s8, 0x3e9e377a
	v_pk_add_f32 v[2:3], v[2:3], v[6:7]
	v_mov_b32_e32 v15, v11
	v_mov_b32_e32 v10, v54
	;; [unrolled: 1-line block ×3, first 2 shown]
	v_pk_mul_f32 v[52:53], v[12:13], s[8:9] op_sel_hi:[1,0]
	v_pk_mul_f32 v[6:7], v[2:3], s[8:9] op_sel_hi:[1,0]
	v_pk_fma_f32 v[2:3], v[2:3], s[8:9], v[14:15] op_sel_hi:[1,0,1]
	v_pk_fma_f32 v[14:15], v[42:43], s[2:3], v[54:55] op_sel_hi:[1,0,1]
	v_pk_fma_f32 v[10:11], v[48:49], s[2:3], v[10:11] op_sel_hi:[1,0,1] neg_lo:[1,0,0] neg_hi:[1,0,0]
	v_pk_mul_f32 v[50:51], v[48:49], s[2:3] op_sel_hi:[1,0]
	v_mov_b32_e32 v15, v11
	v_mov_b32_e32 v10, v6
	;; [unrolled: 1-line block ×3, first 2 shown]
	v_pk_add_f32 v[14:15], v[10:11], v[14:15]
	v_pk_add_f32 v[10:11], v[18:19], v[44:45] op_sel:[0,1] op_sel_hi:[1,0]
	v_pk_fma_f32 v[16:17], v[40:41], 0.5, v[16:17] op_sel_hi:[1,0,1] neg_lo:[1,0,0] neg_hi:[1,0,0]
	v_pk_add_f32 v[18:19], v[10:11], v[50:51] op_sel:[0,1] op_sel_hi:[1,0]
	v_pk_add_f32 v[10:11], v[10:11], v[50:51] op_sel:[0,1] op_sel_hi:[1,0] neg_lo:[0,1] neg_hi:[0,1]
	v_pk_mul_f32 v[26:27], v[26:27], s[4:5] op_sel_hi:[1,0]
	v_mov_b32_e32 v19, v11
	v_pk_fma_f32 v[10:11], v[12:13], s[8:9], v[18:19] op_sel_hi:[1,0,1]
	v_mov_b32_e32 v12, v47
	v_mov_b32_e32 v13, v55
	v_pk_fma_f32 v[12:13], v[48:49], s[2:3], v[12:13] op_sel_hi:[1,0,1]
	v_pk_fma_f32 v[18:19], v[42:43], s[2:3], v[54:55] op_sel_hi:[1,0,1] neg_lo:[1,0,0] neg_hi:[1,0,0]
	v_pk_mul_f32 v[28:29], v[28:29], s[2:3] op_sel_hi:[1,0]
	v_mov_b32_e32 v13, v19
	v_mov_b32_e32 v6, v53
	s_mov_b32 s3, s4
	v_pk_add_f32 v[40:41], v[16:17], v[26:27] op_sel:[0,1] op_sel_hi:[1,0]
	v_pk_add_f32 v[16:17], v[16:17], v[26:27] op_sel:[0,1] op_sel_hi:[1,0] neg_lo:[0,1] neg_hi:[0,1]
	v_pk_add_f32 v[6:7], v[6:7], v[12:13]
	s_mov_b32 s10, 0x3f4f1bbd
	v_pk_mul_f32 v[12:13], v[10:11], s[2:3]
	s_mov_b32 s11, s8
	v_pk_add_f32 v[40:41], v[28:29], v[40:41] op_sel:[1,0] op_sel_hi:[0,1]
	v_pk_add_f32 v[16:17], v[16:17], v[28:29] op_sel:[0,1] op_sel_hi:[1,0] neg_lo:[0,1] neg_hi:[0,1]
	v_mov_b32_e32 v28, v0
	v_mul_f32_e32 v0, 0x3f4f1bbd, v10
	v_pk_fma_f32 v[18:19], v[2:3], s[10:11], v[12:13] neg_lo:[0,0,1] neg_hi:[0,0,1]
	v_pk_fma_f32 v[20:21], v[2:3], s[10:11], v[12:13]
	v_pk_mul_f32 v[12:13], v[6:7], s[8:9] op_sel_hi:[1,0]
	v_mov_b32_e32 v26, v16
	v_mov_b32_e32 v27, v41
	;; [unrolled: 1-line block ×3, first 2 shown]
	v_fmac_f32_e32 v0, 0x3f167918, v2
	v_mul_f32_e32 v2, 0xbf737871, v3
	v_mov_b32_e32 v41, v17
	v_mov_b32_e32 v33, v1
	v_pk_fma_f32 v[6:7], v[6:7], s[4:5], v[12:13] op_sel:[0,0,1] op_sel_hi:[1,1,0] neg_lo:[0,0,1] neg_hi:[0,0,1]
	s_mov_b32 s3, 0xbf167918
	v_pk_mul_f32 v[12:13], v[14:15], s[10:11] op_sel_hi:[1,0]
	v_fmac_f32_e32 v2, 0x3e9e377a, v11
	v_pk_fma_f32 v[34:35], v[22:23], s[8:9], v[40:41] op_sel_hi:[1,0,1]
	v_pk_fma_f32 v[22:23], v[22:23], s[8:9], v[26:27] op_sel_hi:[1,0,1]
	;; [unrolled: 1-line block ×4, first 2 shown]
	v_pk_fma_f32 v[28:29], v[14:15], s[2:3], v[12:13] op_sel:[0,0,1] op_sel_hi:[1,1,0] neg_lo:[0,0,1] neg_hi:[0,0,1]
	v_mov_b32_e32 v1, v18
	v_mov_b32_e32 v19, v21
	v_add_f32_e32 v10, v34, v0
	v_mov_b32_e32 v12, v35
	v_mov_b32_e32 v13, v26
	;; [unrolled: 1-line block ×9, first 2 shown]
	v_pk_add_f32 v[40:41], v[34:35], v[0:1] neg_lo:[0,1] neg_hi:[0,1]
	v_mov_b32_e32 v0, v21
	v_mov_b32_e32 v1, v2
	v_pk_add_f32 v[8:9], v[4:5], v[30:31]
	v_pk_add_f32 v[12:13], v[12:13], v[18:19]
	;; [unrolled: 1-line block ×4, first 2 shown]
	v_add_f32_e32 v20, v23, v29
	v_pk_add_f32 v[44:45], v[4:5], v[30:31] neg_lo:[0,1] neg_hi:[0,1]
	v_pk_add_f32 v[46:47], v[26:27], v[0:1] neg_lo:[0,1] neg_hi:[0,1]
	;; [unrolled: 1-line block ×4, first 2 shown]
	v_mul_lo_u16_e32 v55, 10, v39
	s_barrier
	s_and_saveexec_b64 s[2:3], s[6:7]
	s_cbranch_execz .LBB0_7
; %bb.6:
	v_lshlrev_b32_e32 v0, 3, v55
	ds_write_b96 v0, v[8:10]
	ds_write2_b32 v0, v12, v13 offset0:3 offset1:4
	ds_write2_b32 v0, v14, v15 offset0:5 offset1:6
	;; [unrolled: 1-line block ×3, first 2 shown]
	ds_write_b32 v0, v20 offset:36
	ds_write2_b64 v0, v[44:45], v[40:41] offset0:5 offset1:6
	ds_write2_b64 v0, v[46:47], v[42:43] offset0:7 offset1:8
	ds_write_b64 v0, v[18:19] offset:72
.LBB0_7:
	s_or_b64 exec, exec, s[2:3]
	s_load_dwordx2 s[14:15], s[0:1], 0x8
	s_movk_i32 s2, 0x96
	s_movk_i32 s4, 0x95
	v_cmp_gt_u16_e64 s[2:3], s2, v39
	v_cmp_lt_u16_e64 s[4:5], s4, v39
	s_waitcnt lgkmcnt(0)
	s_barrier
	s_and_saveexec_b64 s[8:9], s[4:5]
	s_xor_b64 s[8:9], exec, s[8:9]
	s_or_saveexec_b64 s[8:9], s[8:9]
	s_load_dwordx2 s[0:1], s[0:1], 0x20
	s_xor_b64 exec, exec, s[8:9]
	s_cbranch_execz .LBB0_9
; %bb.8:
	v_add_u32_e32 v0, 0x800, v36
	ds_read2_b64 v[8:11], v36 offset1:150
	ds_read2_b64 v[0:3], v0 offset0:44 offset1:194
	ds_read_b64 v[4:5], v36 offset:4800
	s_waitcnt lgkmcnt(0)
	v_mov_b32_e32 v12, v11
	v_mov_b32_e32 v13, v0
	;; [unrolled: 1-line block ×7, first 2 shown]
.LBB0_9:
	s_or_b64 exec, exec, s[8:9]
	s_movk_i32 s8, 0xcd
	v_mul_lo_u16_sdwa v0, v39, s8 dst_sel:DWORD dst_unused:UNUSED_PAD src0_sel:BYTE_0 src1_sel:DWORD
	v_lshrrev_b16_e32 v37, 11, v0
	v_mul_lo_u16_e32 v0, 10, v37
	v_sub_u16_e32 v0, v39, v0
	v_and_b32_e32 v54, 0xff, v0
	v_lshlrev_b32_e32 v11, 5, v54
	global_load_dwordx4 v[4:7], v11, s[14:15]
	global_load_dwordx4 v[0:3], v11, s[14:15] offset:16
	s_mov_b32 s18, 0x3f737871
	s_mov_b32 s8, 0x3f167918
	s_mov_b32 s10, 0x3e9e377a
	s_waitcnt lgkmcnt(0)
	s_barrier
	s_waitcnt vmcnt(1)
	v_pk_mul_f32 v[22:23], v[12:13], v[4:5] op_sel_hi:[0,1]
	v_pk_mul_f32 v[24:25], v[14:15], v[6:7] op_sel_hi:[0,1]
	s_waitcnt vmcnt(0)
	v_pk_mul_f32 v[26:27], v[16:17], v[0:1] op_sel_hi:[0,1]
	v_pk_mul_f32 v[28:29], v[20:21], v[2:3] op_sel_hi:[0,1]
	v_pk_fma_f32 v[20:21], v[10:11], v[4:5], v[22:23] op_sel:[0,0,1] op_sel_hi:[1,1,0] neg_lo:[0,0,1] neg_hi:[0,0,1]
	v_pk_fma_f32 v[22:23], v[10:11], v[4:5], v[22:23] op_sel:[0,0,1] op_sel_hi:[0,1,0]
	v_pk_fma_f32 v[10:11], v[12:13], v[6:7], v[24:25] op_sel:[1,0,1] op_sel_hi:[1,1,0] neg_lo:[0,0,1] neg_hi:[0,0,1]
	v_pk_fma_f32 v[24:25], v[12:13], v[6:7], v[24:25] op_sel:[1,0,1] op_sel_hi:[1,1,0]
	;; [unrolled: 2-line block ×4, first 2 shown]
	v_mov_b32_e32 v21, v23
	v_mov_b32_e32 v11, v25
	;; [unrolled: 1-line block ×4, first 2 shown]
	v_pk_add_f32 v[16:17], v[20:21], v[14:15]
	v_pk_add_f32 v[26:27], v[10:11], v[12:13]
	v_pk_add_f32 v[30:31], v[20:21], v[14:15] neg_lo:[0,1] neg_hi:[0,1]
	v_pk_add_f32 v[28:29], v[10:11], v[12:13] neg_lo:[0,1] neg_hi:[0,1]
	;; [unrolled: 1-line block ×6, first 2 shown]
	v_pk_fma_f32 v[16:17], v[16:17], 0.5, v[8:9] op_sel_hi:[1,0,1] neg_lo:[1,0,0] neg_hi:[1,0,0]
	v_pk_fma_f32 v[26:27], v[26:27], 0.5, v[8:9] op_sel_hi:[1,0,1] neg_lo:[1,0,0] neg_hi:[1,0,0]
	v_pk_add_f32 v[48:49], v[22:23], v[24:25]
	v_pk_add_f32 v[50:51], v[32:33], v[34:35]
	v_pk_fma_f32 v[22:23], v[28:29], s[18:19], v[16:17] op_sel:[1,0,0] op_sel_hi:[0,0,1]
	v_pk_fma_f32 v[24:25], v[28:29], s[18:19], v[16:17] op_sel:[1,0,0] op_sel_hi:[0,0,1] neg_lo:[1,0,0] neg_hi:[1,0,0]
	v_pk_fma_f32 v[32:33], v[30:31], s[18:19], v[26:27] op_sel:[1,0,0] op_sel_hi:[0,0,1] neg_lo:[1,0,0] neg_hi:[1,0,0]
	v_pk_fma_f32 v[34:35], v[30:31], s[18:19], v[26:27] op_sel:[1,0,0] op_sel_hi:[0,0,1]
	v_pk_fma_f32 v[26:27], v[30:31], s[8:9], v[22:23] op_sel:[1,0,0] op_sel_hi:[0,0,1] neg_lo:[1,0,0] neg_hi:[1,0,0]
	v_pk_fma_f32 v[16:17], v[30:31], s[8:9], v[24:25] op_sel:[1,0,0] op_sel_hi:[0,0,1]
	;; [unrolled: 2-line block ×3, first 2 shown]
	v_mov_b32_e32 v27, v17
	v_mov_b32_e32 v53, v57
	v_pk_fma_f32 v[16:17], v[50:51], s[10:11], v[52:53] op_sel_hi:[1,0,1]
	v_pk_fma_f32 v[26:27], v[48:49], s[10:11], v[26:27] op_sel_hi:[1,0,1]
	v_mul_u32_u24_e32 v56, 50, v37
	s_and_saveexec_b64 s[18:19], s[2:3]
	s_cbranch_execz .LBB0_11
; %bb.10:
	v_pk_add_f32 v[8:9], v[8:9], v[20:21]
	v_pk_mul_f32 v[28:29], v[28:29], s[8:9] op_sel:[1,0] op_sel_hi:[0,0]
	v_pk_add_f32 v[8:9], v[8:9], v[10:11]
	v_pk_add_f32 v[10:11], v[34:35], v[28:29]
	v_pk_add_f32 v[8:9], v[8:9], v[12:13]
	v_pk_add_f32 v[12:13], v[32:33], v[28:29] neg_lo:[0,1] neg_hi:[0,1]
	v_pk_mul_f32 v[50:51], v[50:51], s[10:11] op_sel_hi:[1,0]
	v_mov_b32_e32 v11, v13
	v_pk_mul_f32 v[30:31], v[30:31], s[8:9] op_sel:[1,0] op_sel_hi:[0,0]
	v_add_lshl_u32 v37, v56, v54, 3
	v_pk_add_f32 v[8:9], v[8:9], v[14:15]
	v_pk_add_f32 v[10:11], v[50:51], v[10:11]
	ds_write2_b64 v37, v[8:9], v[10:11] offset1:10
	v_pk_add_f32 v[8:9], v[24:25], v[30:31]
	v_pk_add_f32 v[10:11], v[22:23], v[30:31] neg_lo:[0,1] neg_hi:[0,1]
	v_pk_mul_f32 v[48:49], v[48:49], s[10:11] op_sel_hi:[1,0]
	v_mov_b32_e32 v9, v11
	v_pk_add_f32 v[8:9], v[48:49], v[8:9]
	ds_write2_b64 v37, v[8:9], v[26:27] offset0:20 offset1:30
	ds_write_b64 v37, v[16:17] offset:320
.LBB0_11:
	s_or_b64 exec, exec, s[18:19]
	v_mov_b32_e32 v8, 41
	v_mul_lo_u16_sdwa v8, v39, v8 dst_sel:DWORD dst_unused:UNUSED_PAD src0_sel:BYTE_0 src1_sel:DWORD
	v_lshrrev_b16_e32 v22, 11, v8
	v_mul_lo_u16_e32 v8, 50, v22
	v_sub_u16_e32 v8, v39, v8
	v_and_b32_e32 v23, 0xff, v8
	v_lshlrev_b32_e32 v8, 4, v23
	s_load_dwordx4 s[8:11], s[0:1], 0x0
	s_waitcnt lgkmcnt(0)
	s_barrier
	global_load_dwordx4 v[8:11], v8, s[14:15] offset:320
	ds_read2_b64 v[12:15], v36 offset1:250
	ds_read_b64 v[20:21], v36 offset:4000
	v_mul_u32_u24_e32 v22, 0x96, v22
	v_add_lshl_u32 v57, v22, v23, 3
	s_mov_b32 s0, 0x3f5db3d7
	s_waitcnt lgkmcnt(0)
	s_barrier
	s_waitcnt vmcnt(0)
	v_pk_mul_f32 v[22:23], v[14:15], v[8:9] op_sel:[0,1]
	v_mov_b32_e32 v24, v11
	v_pk_fma_f32 v[30:31], v[14:15], v[8:9], v[22:23] op_sel:[0,0,1] op_sel_hi:[1,1,0] neg_lo:[0,0,1] neg_hi:[0,0,1]
	v_pk_fma_f32 v[14:15], v[14:15], v[8:9], v[22:23] op_sel:[0,0,1] op_sel_hi:[1,0,0]
	v_pk_mul_f32 v[22:23], v[20:21], v[24:25] op_sel_hi:[1,0]
	v_mov_b32_e32 v31, v15
	v_pk_fma_f32 v[14:15], v[20:21], v[10:11], v[22:23] op_sel:[0,0,1] op_sel_hi:[1,1,0] neg_lo:[0,0,1] neg_hi:[0,0,1]
	v_pk_fma_f32 v[20:21], v[20:21], v[10:11], v[22:23] op_sel:[0,0,1] op_sel_hi:[1,0,0]
	s_nop 0
	v_mov_b32_e32 v15, v21
	v_pk_add_f32 v[20:21], v[12:13], v[30:31]
	s_nop 0
	v_pk_add_f32 v[28:29], v[20:21], v[14:15]
	v_pk_add_f32 v[20:21], v[30:31], v[14:15]
	v_pk_add_f32 v[14:15], v[30:31], v[14:15] neg_lo:[0,1] neg_hi:[0,1]
	v_pk_fma_f32 v[12:13], -0.5, v[20:21], v[12:13] op_sel_hi:[0,1,1]
	v_pk_mul_f32 v[14:15], v[14:15], s[0:1] op_sel_hi:[1,0]
	s_nop 0
	v_pk_add_f32 v[24:25], v[12:13], v[14:15] op_sel:[0,1] op_sel_hi:[1,0] neg_lo:[0,1] neg_hi:[0,1]
	v_pk_add_f32 v[32:33], v[14:15], v[12:13] op_sel:[1,0] op_sel_hi:[0,1]
	v_mov_b32_e32 v12, v32
	v_mov_b32_e32 v13, v25
	;; [unrolled: 1-line block ×4, first 2 shown]
	ds_write2_b64 v57, v[28:29], v[12:13] offset1:50
	ds_write_b64 v57, v[14:15] offset:800
	s_waitcnt lgkmcnt(0)
	s_barrier
	s_and_saveexec_b64 s[0:1], s[4:5]
	s_xor_b64 s[0:1], exec, s[0:1]
	s_andn2_saveexec_b64 s[0:1], s[0:1]
	s_cbranch_execz .LBB0_13
; %bb.12:
	ds_read2_b64 v[28:31], v36 offset1:150
	v_add_u32_e32 v12, 0x800, v36
	ds_read2_b64 v[24:27], v12 offset0:44 offset1:194
	ds_read_b64 v[16:17], v36 offset:4800
	s_waitcnt lgkmcnt(2)
	v_mov_b32_e32 v32, v30
	s_waitcnt lgkmcnt(1)
	v_mov_b32_e32 v33, v25
	v_mov_b32_e32 v25, v31
.LBB0_13:
	s_or_b64 exec, exec, s[0:1]
	s_movk_i32 s0, 0xfda8
	v_lshlrev_b32_e32 v12, 2, v39
	v_mov_b32_e32 v13, 0
	s_mov_b32 s1, -1
	v_lshl_add_u64 v[14:15], v[12:13], 0, s[0:1]
	v_cndmask_b32_e64 v13, v15, 0, s[2:3]
	v_cndmask_b32_e64 v12, v14, v12, s[2:3]
	v_lshl_add_u64 v[30:31], v[12:13], 3, s[14:15]
	global_load_dwordx4 v[20:23], v[30:31], off offset:1120
	global_load_dwordx4 v[12:15], v[30:31], off offset:1136
	s_mov_b32 s0, 0x3f737871
	s_mov_b32 s14, 0x3f167918
	;; [unrolled: 1-line block ×3, first 2 shown]
	s_waitcnt vmcnt(1)
	v_pk_mul_f32 v[30:31], v[24:25], v[20:21] op_sel:[1,0]
	v_pk_mul_f32 v[34:35], v[32:33], v[22:23] op_sel:[1,0]
	s_waitcnt vmcnt(0)
	v_pk_mul_f32 v[48:49], v[26:27], v[12:13] op_sel:[1,0]
	s_waitcnt lgkmcnt(0)
	v_pk_mul_f32 v[50:51], v[16:17], v[14:15] op_sel:[1,0]
	v_pk_fma_f32 v[52:53], v[32:33], v[20:21], v[30:31] op_sel:[0,0,1] op_sel_hi:[1,1,0] neg_lo:[0,0,1] neg_hi:[0,0,1]
	v_pk_fma_f32 v[30:31], v[32:33], v[20:21], v[30:31] op_sel:[0,0,1] op_sel_hi:[0,1,0]
	v_pk_fma_f32 v[32:33], v[24:25], v[22:23], v[34:35] op_sel:[0,0,1] op_sel_hi:[1,1,0] neg_lo:[0,0,1] neg_hi:[0,0,1]
	v_pk_fma_f32 v[24:25], v[24:25], v[22:23], v[34:35] op_sel:[0,0,1] op_sel_hi:[0,1,0]
	;; [unrolled: 2-line block ×4, first 2 shown]
	v_mov_b32_e32 v53, v31
	v_mov_b32_e32 v33, v25
	;; [unrolled: 1-line block ×4, first 2 shown]
	v_pk_add_f32 v[24:25], v[52:53], v[48:49]
	v_pk_add_f32 v[58:59], v[28:29], v[52:53]
	;; [unrolled: 1-line block ×3, first 2 shown]
	v_pk_add_f32 v[16:17], v[52:53], v[48:49] neg_lo:[0,1] neg_hi:[0,1]
	v_pk_add_f32 v[26:27], v[32:33], v[34:35] neg_lo:[0,1] neg_hi:[0,1]
	;; [unrolled: 1-line block ×6, first 2 shown]
	v_pk_fma_f32 v[24:25], v[24:25], 0.5, v[28:29] op_sel_hi:[1,0,1] neg_lo:[1,0,0] neg_hi:[1,0,0]
	v_pk_add_f32 v[32:33], v[58:59], v[32:33]
	v_pk_fma_f32 v[28:29], v[60:61], 0.5, v[28:29] op_sel_hi:[1,0,1] neg_lo:[1,0,0] neg_hi:[1,0,0]
	v_pk_add_f32 v[30:31], v[30:31], v[50:51]
	v_pk_add_f32 v[50:51], v[52:53], v[62:63]
	v_pk_fma_f32 v[52:53], v[26:27], s[0:1], v[24:25] op_sel:[1,0,0] op_sel_hi:[0,0,1]
	v_pk_fma_f32 v[24:25], v[26:27], s[0:1], v[24:25] op_sel:[1,0,0] op_sel_hi:[0,0,1] neg_lo:[1,0,0] neg_hi:[1,0,0]
	v_pk_add_f32 v[32:33], v[32:33], v[34:35]
	v_pk_fma_f32 v[34:35], v[16:17], s[0:1], v[28:29] op_sel:[1,0,0] op_sel_hi:[0,0,1]
	v_pk_fma_f32 v[28:29], v[16:17], s[0:1], v[28:29] op_sel:[1,0,0] op_sel_hi:[0,0,1] neg_lo:[1,0,0] neg_hi:[1,0,0]
	v_pk_fma_f32 v[58:59], v[16:17], s[14:15], v[24:25] op_sel:[1,0,0] op_sel_hi:[0,0,1]
	v_pk_fma_f32 v[16:17], v[16:17], s[14:15], v[52:53] op_sel:[1,0,0] op_sel_hi:[0,0,1] neg_lo:[1,0,0] neg_hi:[1,0,0]
	v_pk_fma_f32 v[28:29], v[26:27], s[14:15], v[28:29] op_sel:[1,0,0] op_sel_hi:[0,0,1] neg_lo:[1,0,0] neg_hi:[1,0,0]
	v_pk_fma_f32 v[26:27], v[26:27], s[14:15], v[34:35] op_sel:[1,0,0] op_sel_hi:[0,0,1]
	v_pk_add_f32 v[24:25], v[32:33], v[48:49]
	v_mov_b32_e32 v34, v16
	v_mov_b32_e32 v35, v59
	;; [unrolled: 1-line block ×6, first 2 shown]
	v_pk_fma_f32 v[26:27], v[50:51], s[18:19], v[32:33] op_sel_hi:[1,0,1]
	v_pk_fma_f32 v[28:29], v[50:51], s[18:19], v[28:29] op_sel_hi:[1,0,1]
	;; [unrolled: 1-line block ×4, first 2 shown]
	s_and_saveexec_b64 s[0:1], s[2:3]
	s_cbranch_execz .LBB0_15
; %bb.14:
	v_add_u32_e32 v16, 0x800, v36
	ds_write2_b64 v36, v[24:25], v[26:27] offset1:150
	ds_write2_b64 v16, v[32:33], v[34:35] offset0:44 offset1:194
	ds_write_b64 v36, v[28:29] offset:4800
.LBB0_15:
	s_or_b64 exec, exec, s[0:1]
	s_waitcnt lgkmcnt(0)
	s_barrier
	s_and_saveexec_b64 s[14:15], s[6:7]
	s_cbranch_execz .LBB0_17
; %bb.16:
	v_mov_b32_e32 v37, 0
	v_lshl_add_u64 v[16:17], s[12:13], 0, v[36:37]
	s_movk_i32 s0, 0x2000
	v_add_co_u32_e32 v30, vcc, 0x1000, v16
	v_add_co_u32_e64 v48, s[0:1], s0, v16
	s_nop 0
	v_addc_co_u32_e32 v31, vcc, 0, v17, vcc
	v_addc_co_u32_e64 v49, s[0:1], 0, v17, s[0:1]
	global_load_dwordx2 v[52:53], v[48:49], off offset:3208
	s_mov_b64 s[0:1], 0x1770
	global_load_dwordx2 v[30:31], v[30:31], off offset:1904
	v_lshl_add_u64 v[16:17], v[16:17], 0, s[0:1]
	global_load_dwordx2 v[70:71], v[16:17], off offset:600
	global_load_dwordx2 v[72:73], v[16:17], off offset:1200
	;; [unrolled: 1-line block ×8, first 2 shown]
	ds_read_b64 v[16:17], v36 offset:5400
	ds_read_b64 v[48:49], v36
	v_add_u32_e32 v37, 0x400, v36
	v_add_u32_e32 v88, 0x800, v36
	;; [unrolled: 1-line block ×3, first 2 shown]
	s_waitcnt vmcnt(9) lgkmcnt(1)
	v_mul_f32_e32 v50, v17, v53
	v_mul_f32_e32 v87, v16, v53
	s_waitcnt vmcnt(8) lgkmcnt(0)
	v_mul_f32_e32 v53, v49, v31
	v_mul_f32_e32 v51, v48, v31
	v_fma_f32 v86, v16, v52, -v50
	v_fma_f32 v50, v48, v30, -v53
	v_fmac_f32_e32 v51, v49, v30
	ds_write_b64 v36, v[50:51]
	ds_read2_b64 v[48:51], v36 offset0:75 offset1:150
	ds_read2_b64 v[58:61], v37 offset0:97 offset1:172
	;; [unrolled: 1-line block ×4, first 2 shown]
	v_fmac_f32_e32 v87, v17, v52
	s_waitcnt vmcnt(5) lgkmcnt(2)
	v_mul_f32_e32 v52, v59, v75
	v_mul_f32_e32 v16, v49, v71
	;; [unrolled: 1-line block ×6, first 2 shown]
	s_waitcnt vmcnt(4)
	v_mul_f32_e32 v90, v61, v77
	v_mul_f32_e32 v71, v60, v77
	s_waitcnt vmcnt(3) lgkmcnt(1)
	v_mul_f32_e32 v91, v63, v79
	v_mul_f32_e32 v73, v62, v79
	s_waitcnt vmcnt(2)
	v_mul_f32_e32 v92, v65, v81
	v_mul_f32_e32 v75, v64, v81
	s_waitcnt vmcnt(1) lgkmcnt(0)
	v_mul_f32_e32 v81, v67, v83
	v_mul_f32_e32 v77, v66, v83
	s_waitcnt vmcnt(0)
	v_mul_f32_e32 v83, v69, v85
	v_mul_f32_e32 v79, v68, v85
	v_fma_f32 v16, v48, v70, -v16
	v_fmac_f32_e32 v17, v49, v70
	v_fma_f32 v30, v50, v72, -v30
	v_fmac_f32_e32 v31, v51, v72
	v_fma_f32 v52, v58, v74, -v52
	v_fmac_f32_e32 v53, v59, v74
	v_fma_f32 v70, v60, v76, -v90
	v_fmac_f32_e32 v71, v61, v76
	v_fma_f32 v72, v62, v78, -v91
	v_fmac_f32_e32 v73, v63, v78
	v_fma_f32 v74, v64, v80, -v92
	v_fmac_f32_e32 v75, v65, v80
	v_fma_f32 v76, v66, v82, -v81
	v_fmac_f32_e32 v77, v67, v82
	v_fma_f32 v78, v68, v84, -v83
	v_fmac_f32_e32 v79, v69, v84
	ds_write2_b64 v36, v[16:17], v[30:31] offset0:75 offset1:150
	ds_write2_b64 v37, v[52:53], v[70:71] offset0:97 offset1:172
	ds_write2_b64 v88, v[72:73], v[74:75] offset0:119 offset1:194
	ds_write2_b64 v89, v[76:77], v[78:79] offset0:13 offset1:88
	ds_write_b64 v36, v[86:87] offset:5400
.LBB0_17:
	s_or_b64 exec, exec, s[14:15]
	s_waitcnt lgkmcnt(0)
	s_barrier
	s_and_saveexec_b64 s[0:1], s[6:7]
	s_cbranch_execz .LBB0_19
; %bb.18:
	v_add_u32_e32 v16, 0xc00, v36
	ds_read2_b64 v[44:47], v16 offset0:66 offset1:141
	v_add_u32_e32 v24, 0x800, v36
	v_add_u32_e32 v16, 0x1000, v36
	ds_read2_b64 v[16:19], v16 offset0:88 offset1:163
	ds_read2_b64 v[28:31], v24 offset0:44 offset1:119
	ds_read2_b64 v[24:27], v36 offset1:75
	ds_read2_b64 v[32:35], v36 offset0:150 offset1:225
	s_waitcnt lgkmcnt(3)
	v_mov_b64_e32 v[42:43], v[16:17]
	v_mov_b64_e32 v[40:41], v[44:45]
	s_waitcnt lgkmcnt(2)
	v_mov_b64_e32 v[44:45], v[30:31]
.LBB0_19:
	s_or_b64 exec, exec, s[0:1]
	s_waitcnt lgkmcnt(0)
	v_pk_add_f32 v[16:17], v[24:25], v[32:33]
	v_mov_b32_e32 v30, v44
	v_mov_b32_e32 v31, v46
	;; [unrolled: 1-line block ×4, first 2 shown]
	v_pk_add_f32 v[50:51], v[34:35], v[18:19]
	v_pk_add_f32 v[30:31], v[30:31], v[52:53] neg_lo:[0,1] neg_hi:[0,1]
	v_pk_add_f32 v[16:17], v[16:17], v[28:29]
	v_pk_add_f32 v[48:49], v[26:27], v[34:35]
	v_fma_f32 v37, -0.5, v50, v26
	v_mov_b32_e32 v50, v31
	v_pk_add_f32 v[16:17], v[16:17], v[40:41]
	v_pk_add_f32 v[52:53], v[30:31], v[50:51]
	;; [unrolled: 1-line block ×4, first 2 shown]
	v_fma_f32 v82, -0.5, v51, v27
	v_pk_add_f32 v[16:17], v[16:17], v[46:47]
	v_mov_b32_e32 v50, v35
	v_pk_add_f32 v[48:49], v[16:17], v[18:19]
	v_mov_b32_e32 v16, v45
	v_mov_b32_e32 v17, v47
	;; [unrolled: 1-line block ×3, first 2 shown]
	v_pk_add_f32 v[16:17], v[16:17], v[50:51] neg_lo:[0,1] neg_hi:[0,1]
	v_pk_add_f32 v[60:61], v[32:33], v[42:43] neg_lo:[0,1] neg_hi:[0,1]
	v_mov_b32_e32 v50, v17
	v_pk_add_f32 v[58:59], v[16:17], v[50:51]
	v_pk_add_f32 v[50:51], v[28:29], v[40:41]
	s_mov_b32 s14, 0x3f737871
	v_pk_fma_f32 v[50:51], v[50:51], 0.5, v[24:25] op_sel_hi:[1,0,1] neg_lo:[1,0,0] neg_hi:[1,0,0]
	v_pk_mul_f32 v[62:63], v[60:61], s[14:15] op_sel_hi:[1,0]
	v_pk_add_f32 v[64:65], v[28:29], v[40:41] neg_lo:[0,1] neg_hi:[0,1]
	s_mov_b32 s0, 0x3f167918
	v_pk_add_f32 v[68:69], v[32:33], v[28:29] neg_lo:[0,1] neg_hi:[0,1]
	v_pk_add_f32 v[70:71], v[42:43], v[40:41] neg_lo:[0,1] neg_hi:[0,1]
	v_pk_mul_f32 v[66:67], v[64:65], s[0:1] op_sel_hi:[1,0]
	v_pk_add_f32 v[68:69], v[68:69], v[70:71]
	v_pk_add_f32 v[70:71], v[50:51], v[62:63] op_sel:[0,1] op_sel_hi:[1,0] neg_lo:[0,1] neg_hi:[0,1]
	v_pk_add_f32 v[50:51], v[50:51], v[62:63] op_sel:[0,1] op_sel_hi:[1,0]
	v_pk_add_f32 v[76:77], v[44:45], v[46:47] neg_lo:[0,1] neg_hi:[0,1]
	v_pk_add_f32 v[62:63], v[50:51], v[66:67] op_sel:[0,1] op_sel_hi:[1,0]
	v_pk_add_f32 v[66:67], v[70:71], v[66:67] op_sel:[0,1] op_sel_hi:[1,0] neg_lo:[0,1] neg_hi:[0,1]
	v_pk_add_f32 v[70:71], v[44:45], v[46:47]
	v_pk_mul_f32 v[78:79], v[76:77], s[0:1] op_sel_hi:[1,0]
	v_pk_fma_f32 v[26:27], v[70:71], 0.5, v[26:27] op_sel_hi:[1,0,1] neg_lo:[1,0,0] neg_hi:[1,0,0]
	v_pk_add_f32 v[70:71], v[34:35], v[18:19] neg_lo:[0,1] neg_hi:[0,1]
	v_pk_add_f32 v[34:35], v[34:35], v[44:45] neg_lo:[0,1] neg_hi:[0,1]
	v_pk_mul_f32 v[72:73], v[70:71], s[14:15] op_sel_hi:[1,0]
	v_pk_add_f32 v[18:19], v[18:19], v[46:47] neg_lo:[0,1] neg_hi:[0,1]
	v_pk_add_f32 v[74:75], v[26:27], v[72:73] op_sel:[0,1] op_sel_hi:[1,0]
	v_pk_add_f32 v[26:27], v[26:27], v[72:73] op_sel:[0,1] op_sel_hi:[1,0] neg_lo:[0,1] neg_hi:[0,1]
	v_mov_b32_e32 v50, v66
	v_mov_b32_e32 v51, v63
	v_pk_add_f32 v[74:75], v[78:79], v[74:75] op_sel:[1,0] op_sel_hi:[0,1]
	v_pk_add_f32 v[18:19], v[34:35], v[18:19]
	v_pk_add_f32 v[26:27], v[26:27], v[78:79] op_sel:[0,1] op_sel_hi:[1,0] neg_lo:[0,1] neg_hi:[0,1]
	v_pk_fma_f32 v[50:51], v[68:69], s[18:19], v[50:51] op_sel_hi:[1,0,1]
	v_pk_fma_f32 v[80:81], v[18:19], s[18:19], v[74:75] op_sel_hi:[1,0,1]
	v_mov_b32_e32 v53, v71
	s_mov_b32 s19, s0
	v_mov_b32_e32 v74, v26
	v_mov_b32_e32 v59, v70
	v_pk_mul_f32 v[34:35], v[52:53], s[18:19]
	v_pk_fma_f32 v[52:53], v[18:19], s[18:19], v[74:75] op_sel_hi:[1,0,1]
	v_pk_fma_f32 v[72:73], v[18:19], s[18:19], v[26:27] op_sel_hi:[1,0,1]
	v_fmamk_f32 v26, v76, 0xbf737871, v82
	v_pk_mul_f32 v[18:19], v[58:59], s[18:19]
	v_fmac_f32_e32 v82, 0x3f737871, v76
	v_fmamk_f32 v44, v77, 0x3f737871, v37
	v_fmac_f32_e32 v37, 0xbf737871, v77
	v_add_f32_e32 v26, v19, v26
	v_sub_f32_e32 v19, v82, v19
	v_sub_f32_e32 v44, v44, v35
	v_add_f32_e32 v35, v35, v37
	v_add_f32_e32 v26, v18, v26
	;; [unrolled: 1-line block ×3, first 2 shown]
	v_pk_mul_f32 v[18:19], v[52:53], s[0:1] op_sel_hi:[1,0]
	s_mov_b32 s20, 0x3f4f1bbd
	v_add_f32_e32 v44, v34, v44
	v_add_f32_e32 v46, v34, v35
	v_pk_fma_f32 v[34:35], v[52:53], s[20:21], v[18:19] op_sel:[0,0,1] op_sel_hi:[1,0,0] neg_lo:[0,0,1] neg_hi:[0,0,1]
	v_pk_fma_f32 v[18:19], v[52:53], s[20:21], v[18:19] op_sel:[0,0,1] op_sel_hi:[1,0,0]
	v_pk_add_f32 v[52:53], v[32:33], v[42:43]
	v_pk_add_f32 v[28:29], v[28:29], v[32:33] neg_lo:[0,1] neg_hi:[0,1]
	v_pk_add_f32 v[32:33], v[40:41], v[42:43] neg_lo:[0,1] neg_hi:[0,1]
	v_pk_fma_f32 v[24:25], v[52:53], 0.5, v[24:25] op_sel_hi:[1,0,1] neg_lo:[1,0,0] neg_hi:[1,0,0]
	v_pk_add_f32 v[28:29], v[28:29], v[32:33]
	v_pk_mul_f32 v[32:33], v[64:65], s[14:15] op_sel_hi:[1,0]
	v_pk_mul_f32 v[40:41], v[60:61], s[0:1] op_sel_hi:[1,0]
	v_pk_add_f32 v[42:43], v[24:25], v[32:33] op_sel:[0,1] op_sel_hi:[1,0]
	v_pk_add_f32 v[24:25], v[24:25], v[32:33] op_sel:[0,1] op_sel_hi:[1,0] neg_lo:[0,1] neg_hi:[0,1]
	s_mov_b32 s15, s18
	v_pk_add_f32 v[52:53], v[24:25], v[40:41] op_sel:[0,1] op_sel_hi:[1,0]
	v_pk_add_f32 v[40:41], v[42:43], v[40:41] op_sel:[0,1] op_sel_hi:[1,0] neg_lo:[0,1] neg_hi:[0,1]
	v_mov_b32_e32 v25, v53
	v_mov_b32_e32 v24, v40
	v_pk_fma_f32 v[32:33], v[28:29], s[18:19], v[24:25] op_sel_hi:[1,0,1]
	s_mov_b32 s19, s14
	v_pk_mul_f32 v[24:25], v[26:27], s[14:15] op_sel_hi:[0,1]
	s_mov_b32 s21, s14
	v_pk_mul_f32 v[26:27], v[58:59], s[14:15] op_sel_hi:[0,1]
	s_mov_b32 s14, 0xbf4f1bbd
	v_mov_b32_e32 v53, v41
	s_mov_b32 s15, s0
	s_mov_b32 s0, 0xbf167918
	;; [unrolled: 1-line block ×3, first 2 shown]
	v_pk_fma_f32 v[42:43], v[44:45], s[18:19], v[24:25] neg_lo:[0,0,1] neg_hi:[0,0,1]
	v_pk_fma_f32 v[24:25], v[44:45], s[18:19], v[24:25] op_sel_hi:[0,1,1]
	v_pk_fma_f32 v[40:41], v[28:29], s[18:19], v[52:53] op_sel_hi:[1,0,1]
	s_mov_b32 s20, 0xbe9e377a
	v_mov_b32_e32 v63, v67
	v_pk_mul_f32 v[28:29], v[72:73], s[0:1] op_sel:[1,0]
	v_mov_b32_e32 v35, v19
	v_mov_b32_e32 v43, v25
	v_pk_fma_f32 v[44:45], v[46:47], s[20:21], v[26:27] op_sel_hi:[0,1,1] neg_lo:[0,0,1] neg_hi:[0,0,1]
	v_pk_fma_f32 v[46:47], v[68:69], s[18:19], v[62:63] op_sel_hi:[1,0,1]
	v_pk_fma_f32 v[52:53], v[80:81], s[14:15], v[28:29] op_sel_hi:[0,1,1]
	v_pk_add_f32 v[16:17], v[30:31], v[48:49]
	v_pk_add_f32 v[18:19], v[50:51], v[34:35]
	;; [unrolled: 1-line block ×5, first 2 shown]
	s_barrier
	s_and_saveexec_b64 s[0:1], s[6:7]
	s_cbranch_execz .LBB0_21
; %bb.20:
	v_lshlrev_b32_e32 v37, 3, v55
	v_pk_add_f32 v[30:31], v[30:31], v[48:49] neg_lo:[0,1] neg_hi:[0,1]
	ds_write_b128 v37, v[16:19]
	ds_write_b128 v37, v[24:27] offset:16
	ds_write_b128 v37, v[28:31] offset:32
	v_pk_add_f32 v[30:31], v[50:51], v[34:35] neg_lo:[0,1] neg_hi:[0,1]
	v_pk_add_f32 v[32:33], v[32:33], v[42:43] neg_lo:[0,1] neg_hi:[0,1]
	ds_write_b128 v37, v[30:33] offset:48
	v_pk_add_f32 v[30:31], v[40:41], v[44:45] neg_lo:[0,1] neg_hi:[0,1]
	v_pk_add_f32 v[32:33], v[46:47], v[52:53] neg_lo:[0,1] neg_hi:[0,1]
	ds_write_b128 v37, v[30:33] offset:64
.LBB0_21:
	s_or_b64 exec, exec, s[0:1]
	s_waitcnt lgkmcnt(0)
	s_barrier
	s_and_saveexec_b64 s[0:1], s[2:3]
	s_cbranch_execz .LBB0_23
; %bb.22:
	v_add_u32_e32 v24, 0x800, v36
	ds_read2_b64 v[16:19], v36 offset1:150
	ds_read2_b64 v[24:27], v24 offset0:44 offset1:194
	ds_read_b64 v[28:29], v36 offset:4800
.LBB0_23:
	s_or_b64 exec, exec, s[0:1]
	s_waitcnt lgkmcnt(2)
	v_pk_mul_f32 v[40:41], v[4:5], v[18:19] op_sel:[0,1]
	s_waitcnt lgkmcnt(1)
	v_pk_mul_f32 v[42:43], v[6:7], v[24:25] op_sel:[0,1]
	v_pk_fma_f32 v[34:35], v[4:5], v[18:19], v[40:41] op_sel:[0,0,1] op_sel_hi:[1,1,0]
	v_pk_fma_f32 v[4:5], v[4:5], v[18:19], v[40:41] op_sel:[0,0,1] op_sel_hi:[1,0,0] neg_lo:[1,0,0] neg_hi:[1,0,0]
	v_pk_mul_f32 v[44:45], v[0:1], v[26:27] op_sel:[0,1]
	v_mov_b32_e32 v35, v5
	v_pk_fma_f32 v[4:5], v[6:7], v[24:25], v[42:43] op_sel:[0,0,1] op_sel_hi:[1,1,0]
	v_pk_fma_f32 v[6:7], v[6:7], v[24:25], v[42:43] op_sel:[0,0,1] op_sel_hi:[1,0,0] neg_lo:[1,0,0] neg_hi:[1,0,0]
	s_waitcnt lgkmcnt(0)
	v_pk_mul_f32 v[46:47], v[2:3], v[28:29] op_sel:[0,1]
	v_mov_b32_e32 v5, v7
	v_pk_fma_f32 v[6:7], v[0:1], v[26:27], v[44:45] op_sel:[0,0,1] op_sel_hi:[1,1,0]
	v_pk_fma_f32 v[0:1], v[0:1], v[26:27], v[44:45] op_sel:[0,0,1] op_sel_hi:[1,0,0] neg_lo:[1,0,0] neg_hi:[1,0,0]
	s_mov_b32 s18, 0x3f737871
	v_mov_b32_e32 v7, v1
	v_pk_fma_f32 v[0:1], v[2:3], v[28:29], v[46:47] op_sel:[0,0,1] op_sel_hi:[1,1,0]
	v_pk_fma_f32 v[2:3], v[2:3], v[28:29], v[46:47] op_sel:[0,0,1] op_sel_hi:[1,0,0] neg_lo:[1,0,0] neg_hi:[1,0,0]
	v_pk_add_f32 v[28:29], v[4:5], v[6:7] neg_lo:[0,1] neg_hi:[0,1]
	v_mov_b32_e32 v1, v3
	v_pk_add_f32 v[2:3], v[34:35], v[0:1]
	v_pk_add_f32 v[18:19], v[4:5], v[34:35] neg_lo:[0,1] neg_hi:[0,1]
	v_pk_fma_f32 v[2:3], v[2:3], 0.5, v[16:17] op_sel_hi:[1,0,1] neg_lo:[1,0,0] neg_hi:[1,0,0]
	v_pk_add_f32 v[24:25], v[6:7], v[0:1] neg_lo:[0,1] neg_hi:[0,1]
	v_pk_add_f32 v[40:41], v[34:35], v[0:1] neg_lo:[0,1] neg_hi:[0,1]
	s_mov_b32 s0, 0x3f167918
	v_pk_add_f32 v[42:43], v[18:19], v[24:25]
	v_pk_fma_f32 v[24:25], v[28:29], s[18:19], v[2:3] op_sel:[1,0,0] op_sel_hi:[0,0,1] neg_lo:[1,0,0] neg_hi:[1,0,0]
	v_pk_fma_f32 v[26:27], v[28:29], s[18:19], v[2:3] op_sel:[1,0,0] op_sel_hi:[0,0,1]
	v_pk_fma_f32 v[2:3], v[40:41], s[0:1], v[24:25] op_sel:[1,0,0] op_sel_hi:[0,0,1]
	v_pk_fma_f32 v[18:19], v[40:41], s[0:1], v[26:27] op_sel:[1,0,0] op_sel_hi:[0,0,1] neg_lo:[1,0,0] neg_hi:[1,0,0]
	v_mov_b32_e32 v3, v19
	v_pk_add_f32 v[18:19], v[4:5], v[6:7]
	v_pk_add_f32 v[44:45], v[34:35], v[4:5] neg_lo:[0,1] neg_hi:[0,1]
	v_pk_fma_f32 v[18:19], v[18:19], 0.5, v[16:17] op_sel_hi:[1,0,1] neg_lo:[1,0,0] neg_hi:[1,0,0]
	v_pk_add_f32 v[46:47], v[0:1], v[6:7] neg_lo:[0,1] neg_hi:[0,1]
	s_mov_b32 s14, 0x3e9e377a
	v_pk_add_f32 v[48:49], v[44:45], v[46:47]
	v_pk_fma_f32 v[44:45], v[40:41], s[18:19], v[18:19] op_sel:[1,0,0] op_sel_hi:[0,0,1]
	v_pk_fma_f32 v[46:47], v[40:41], s[18:19], v[18:19] op_sel:[1,0,0] op_sel_hi:[0,0,1] neg_lo:[1,0,0] neg_hi:[1,0,0]
	v_pk_fma_f32 v[18:19], v[28:29], s[0:1], v[44:45] op_sel:[1,0,0] op_sel_hi:[0,0,1]
	v_pk_fma_f32 v[50:51], v[28:29], s[0:1], v[46:47] op_sel:[1,0,0] op_sel_hi:[0,0,1] neg_lo:[1,0,0] neg_hi:[1,0,0]
	v_mov_b32_e32 v19, v51
	v_mov_b32_e32 v32, v8
	;; [unrolled: 1-line block ×7, first 2 shown]
	v_pk_fma_f32 v[18:19], v[48:49], s[14:15], v[18:19] op_sel_hi:[1,0,1]
	v_pk_fma_f32 v[2:3], v[42:43], s[14:15], v[2:3] op_sel_hi:[1,0,1]
	s_barrier
	s_and_saveexec_b64 s[18:19], s[2:3]
	s_cbranch_execz .LBB0_25
; %bb.24:
	v_pk_add_f32 v[16:17], v[16:17], v[34:35]
	v_pk_mul_f32 v[28:29], v[28:29], s[0:1] op_sel:[1,0] op_sel_hi:[0,0]
	v_pk_add_f32 v[4:5], v[16:17], v[4:5]
	v_pk_mul_f32 v[48:49], v[48:49], s[14:15] op_sel_hi:[1,0]
	v_pk_add_f32 v[4:5], v[4:5], v[6:7]
	v_pk_add_f32 v[6:7], v[44:45], v[28:29]
	;; [unrolled: 1-line block ×3, first 2 shown]
	v_pk_add_f32 v[4:5], v[46:47], v[28:29] neg_lo:[0,1] neg_hi:[0,1]
	v_pk_mul_f32 v[40:41], v[40:41], s[0:1] op_sel:[1,0] op_sel_hi:[0,0]
	v_mov_b32_e32 v5, v7
	v_add_lshl_u32 v37, v56, v54, 3
	v_pk_add_f32 v[4:5], v[48:49], v[4:5]
	ds_write2_b64 v37, v[0:1], v[4:5] offset1:10
	v_pk_add_f32 v[0:1], v[26:27], v[40:41] neg_lo:[0,1] neg_hi:[0,1]
	v_pk_add_f32 v[4:5], v[24:25], v[40:41]
	v_pk_mul_f32 v[42:43], v[42:43], s[14:15] op_sel_hi:[1,0]
	v_mov_b32_e32 v1, v5
	v_pk_add_f32 v[0:1], v[42:43], v[0:1]
	ds_write2_b64 v37, v[0:1], v[2:3] offset0:20 offset1:30
	ds_write_b64 v37, v[18:19] offset:320
.LBB0_25:
	s_or_b64 exec, exec, s[18:19]
	s_waitcnt lgkmcnt(0)
	s_barrier
	ds_read2_b64 v[24:27], v36 offset1:250
	ds_read_b64 v[0:1], v36 offset:4000
	s_mov_b32 s0, 0x3f5db3d7
	s_waitcnt lgkmcnt(0)
	s_barrier
	v_pk_mul_f32 v[4:5], v[8:9], v[26:27]
	s_nop 0
	v_pk_fma_f32 v[6:7], v[32:33], v[26:27], v[4:5] op_sel:[0,0,1] op_sel_hi:[1,1,0]
	v_pk_fma_f32 v[4:5], v[32:33], v[26:27], v[4:5] op_sel:[0,0,1] op_sel_hi:[1,1,0] neg_lo:[0,0,1] neg_hi:[0,0,1]
	s_nop 0
	v_mov_b32_e32 v7, v5
	v_pk_mul_f32 v[4:5], v[10:11], v[0:1]
	s_nop 0
	v_pk_fma_f32 v[8:9], v[30:31], v[0:1], v[4:5] op_sel:[0,0,1] op_sel_hi:[1,1,0]
	v_pk_fma_f32 v[0:1], v[30:31], v[0:1], v[4:5] op_sel:[0,0,1] op_sel_hi:[1,1,0] neg_lo:[0,0,1] neg_hi:[0,0,1]
	s_nop 0
	v_mov_b32_e32 v9, v1
	v_pk_add_f32 v[0:1], v[24:25], v[6:7]
	s_nop 0
	v_pk_add_f32 v[4:5], v[0:1], v[8:9]
	v_pk_add_f32 v[0:1], v[6:7], v[8:9]
	v_pk_add_f32 v[6:7], v[6:7], v[8:9] neg_lo:[0,1] neg_hi:[0,1]
	v_pk_fma_f32 v[0:1], -0.5, v[0:1], v[24:25] op_sel_hi:[0,1,1]
	v_pk_mul_f32 v[6:7], v[6:7], s[0:1] op_sel_hi:[1,0]
	s_nop 0
	v_pk_add_f32 v[8:9], v[6:7], v[0:1] op_sel:[1,0] op_sel_hi:[0,1]
	v_pk_add_f32 v[6:7], v[0:1], v[6:7] op_sel:[0,1] op_sel_hi:[1,0] neg_lo:[0,1] neg_hi:[0,1]
	v_mov_b32_e32 v1, v9
	v_mov_b32_e32 v0, v6
	ds_write2_b64 v57, v[4:5], v[0:1] offset1:50
	v_mov_b32_e32 v0, v8
	v_mov_b32_e32 v1, v7
	ds_write_b64 v57, v[0:1] offset:800
	s_waitcnt lgkmcnt(0)
	s_barrier
	s_and_saveexec_b64 s[0:1], s[4:5]
	s_xor_b64 s[0:1], exec, s[0:1]
	s_andn2_saveexec_b64 s[0:1], s[0:1]
	s_cbranch_execz .LBB0_27
; %bb.26:
	ds_read2_b64 v[4:7], v36 offset1:150
	v_add_u32_e32 v0, 0x800, v36
	ds_read2_b64 v[0:3], v0 offset0:44 offset1:194
	ds_read_b64 v[18:19], v36 offset:4800
	s_waitcnt lgkmcnt(2)
	v_mov_b32_e32 v9, v7
	s_waitcnt lgkmcnt(1)
	v_mov_b32_e32 v8, v0
	v_mov_b32_e32 v7, v1
.LBB0_27:
	s_or_b64 exec, exec, s[0:1]
	s_and_saveexec_b64 s[0:1], s[2:3]
	s_cbranch_execz .LBB0_29
; %bb.28:
	v_pk_mul_f32 v[0:1], v[22:23], v[6:7] op_sel:[0,1]
	v_pk_mul_f32 v[10:11], v[20:21], v[8:9] op_sel:[0,1]
	v_pk_fma_f32 v[26:27], v[22:23], v[8:9], v[0:1] op_sel:[0,0,1] op_sel_hi:[1,1,0]
	v_pk_fma_f32 v[0:1], v[22:23], v[8:9], v[0:1] op_sel:[0,0,1] op_sel_hi:[1,0,0] neg_lo:[1,0,0] neg_hi:[1,0,0]
	v_pk_mul_f32 v[16:17], v[12:13], v[2:3] op_sel:[0,1]
	v_mov_b32_e32 v27, v1
	v_pk_fma_f32 v[0:1], v[20:21], v[6:7], v[10:11] op_sel:[0,0,1] op_sel_hi:[1,1,0]
	v_pk_fma_f32 v[6:7], v[20:21], v[6:7], v[10:11] op_sel:[0,0,1] op_sel_hi:[1,0,0] neg_lo:[1,0,0] neg_hi:[1,0,0]
	s_waitcnt lgkmcnt(0)
	v_pk_mul_f32 v[24:25], v[14:15], v[18:19] op_sel:[0,1]
	v_mov_b32_e32 v1, v7
	v_pk_fma_f32 v[6:7], v[12:13], v[2:3], v[16:17] op_sel:[0,0,1] op_sel_hi:[1,1,0]
	v_pk_fma_f32 v[2:3], v[12:13], v[2:3], v[16:17] op_sel:[0,0,1] op_sel_hi:[1,0,0] neg_lo:[1,0,0] neg_hi:[1,0,0]
	v_pk_fma_f32 v[8:9], v[14:15], v[18:19], v[24:25] op_sel:[0,0,1] op_sel_hi:[1,0,0] neg_lo:[1,0,0] neg_hi:[1,0,0]
	v_mov_b32_e32 v7, v3
	v_pk_fma_f32 v[2:3], v[14:15], v[18:19], v[24:25] op_sel:[0,0,1] op_sel_hi:[1,1,0]
	v_pk_add_f32 v[14:15], v[26:27], v[6:7]
	v_mov_b32_e32 v3, v9
	v_pk_add_f32 v[12:13], v[0:1], v[2:3] neg_lo:[0,1] neg_hi:[0,1]
	s_mov_b32 s2, 0x3f737871
	v_pk_add_f32 v[10:11], v[26:27], v[6:7] neg_lo:[0,1] neg_hi:[0,1]
	v_pk_fma_f32 v[14:15], v[14:15], 0.5, v[4:5] op_sel_hi:[1,0,1] neg_lo:[1,0,0] neg_hi:[1,0,0]
	v_pk_mul_f32 v[16:17], v[12:13], s[2:3] op_sel_hi:[1,0]
	s_mov_b32 s4, 0x3f167918
	v_pk_add_f32 v[20:21], v[0:1], v[26:27] neg_lo:[0,1] neg_hi:[0,1]
	v_pk_add_f32 v[22:23], v[2:3], v[6:7] neg_lo:[0,1] neg_hi:[0,1]
	v_pk_add_f32 v[8:9], v[4:5], v[0:1]
	v_pk_mul_f32 v[18:19], v[10:11], s[4:5] op_sel_hi:[1,0]
	v_pk_add_f32 v[20:21], v[20:21], v[22:23]
	v_pk_add_f32 v[22:23], v[14:15], v[16:17] op_sel:[0,1] op_sel_hi:[1,0] neg_lo:[0,1] neg_hi:[0,1]
	v_pk_add_f32 v[14:15], v[14:15], v[16:17] op_sel:[0,1] op_sel_hi:[1,0]
	v_pk_add_f32 v[8:9], v[8:9], v[26:27]
	v_pk_add_f32 v[14:15], v[14:15], v[18:19] op_sel:[0,1] op_sel_hi:[1,0]
	v_pk_add_f32 v[16:17], v[22:23], v[18:19] op_sel:[0,1] op_sel_hi:[1,0] neg_lo:[0,1] neg_hi:[0,1]
	v_pk_add_f32 v[8:9], v[8:9], v[6:7]
	v_mov_b32_e32 v18, v16
	v_mov_b32_e32 v19, v15
	v_pk_add_f32 v[8:9], v[8:9], v[2:3]
	v_pk_fma_f32 v[18:19], v[20:21], s[14:15], v[18:19] op_sel_hi:[1,0,1]
	ds_write2_b64 v36, v[8:9], v[18:19] offset1:150
	v_pk_add_f32 v[8:9], v[26:27], v[0:1] neg_lo:[0,1] neg_hi:[0,1]
	v_pk_add_f32 v[0:1], v[0:1], v[2:3]
	v_pk_add_f32 v[6:7], v[6:7], v[2:3] neg_lo:[0,1] neg_hi:[0,1]
	v_pk_fma_f32 v[0:1], v[0:1], 0.5, v[4:5] op_sel_hi:[1,0,1] neg_lo:[1,0,0] neg_hi:[1,0,0]
	v_pk_mul_f32 v[2:3], v[10:11], s[2:3] op_sel_hi:[1,0]
	v_pk_add_f32 v[6:7], v[8:9], v[6:7]
	v_pk_mul_f32 v[4:5], v[12:13], s[4:5] op_sel_hi:[1,0]
	v_pk_add_f32 v[8:9], v[0:1], v[2:3] op_sel:[0,1] op_sel_hi:[1,0]
	v_pk_add_f32 v[0:1], v[0:1], v[2:3] op_sel:[0,1] op_sel_hi:[1,0] neg_lo:[0,1] neg_hi:[0,1]
	v_pk_add_f32 v[2:3], v[8:9], v[4:5] op_sel:[0,1] op_sel_hi:[1,0] neg_lo:[0,1] neg_hi:[0,1]
	v_pk_add_f32 v[0:1], v[0:1], v[4:5] op_sel:[0,1] op_sel_hi:[1,0]
	v_mov_b32_e32 v4, v2
	v_mov_b32_e32 v5, v1
	;; [unrolled: 1-line block ×3, first 2 shown]
	v_pk_fma_f32 v[4:5], v[6:7], s[14:15], v[4:5] op_sel_hi:[1,0,1]
	v_pk_fma_f32 v[0:1], v[6:7], s[14:15], v[0:1] op_sel_hi:[1,0,1]
	v_add_u32_e32 v2, 0x800, v36
	v_mov_b32_e32 v15, v17
	ds_write2_b64 v2, v[4:5], v[0:1] offset0:44 offset1:194
	v_pk_fma_f32 v[0:1], v[20:21], s[14:15], v[14:15] op_sel_hi:[1,0,1]
	ds_write_b64 v36, v[0:1] offset:4800
.LBB0_29:
	s_or_b64 exec, exec, s[0:1]
	s_waitcnt lgkmcnt(0)
	s_barrier
	s_and_b64 exec, exec, s[6:7]
	s_cbranch_execz .LBB0_31
; %bb.30:
	global_load_dwordx2 v[8:9], v36, s[12:13]
	global_load_dwordx2 v[10:11], v36, s[12:13] offset:600
	global_load_dwordx2 v[12:13], v36, s[12:13] offset:1200
	;; [unrolled: 1-line block ×3, first 2 shown]
	ds_read_b64 v[20:21], v36
	global_load_dwordx2 v[24:25], v36, s[12:13] offset:2400
	ds_read2_b64 v[0:3], v36 offset0:75 offset1:150
	global_load_dwordx2 v[26:27], v36, s[12:13] offset:3000
	global_load_dwordx2 v[28:29], v36, s[12:13] offset:3600
	v_mad_u64_u32 v[18:19], s[0:1], s10, v38, 0
	v_mov_b32_e32 v37, 0
	v_mad_u64_u32 v[22:23], s[2:3], s8, v39, 0
	s_movk_i32 s3, 0x1000
	v_mov_b32_e32 v32, v19
	v_lshl_add_u64 v[34:35], s[12:13], 0, v[36:37]
	v_mad_u64_u32 v[32:33], s[4:5], s11, v38, v[32:33]
	v_add_co_u32_e32 v34, vcc, s3, v34
	v_mov_b32_e32 v19, v32
	s_nop 0
	v_addc_co_u32_e32 v35, vcc, 0, v35, vcc
	v_mov_b32_e32 v40, v23
	v_mov_b32_e32 v16, s16
	;; [unrolled: 1-line block ×3, first 2 shown]
	v_mad_u64_u32 v[38:39], s[4:5], s9, v39, v[40:41]
	v_mov_b32_e32 v23, v38
	v_lshl_add_u64 v[16:17], v[18:19], 3, v[16:17]
	s_mov_b32 s0, 0xc3ece2a5
	v_mov_b32_e32 v42, 0x258
	v_lshl_add_u64 v[16:17], v[22:23], 3, v[16:17]
	s_mov_b32 s1, 0x3f55d867
	s_mul_i32 s2, s9, 0x258
	v_mad_u64_u32 v[18:19], s[4:5], s8, v42, v[16:17]
	v_add_u32_e32 v19, s2, v19
	v_add_u32_e32 v4, 0x400, v36
	v_mad_u64_u32 v[22:23], s[4:5], s8, v42, v[18:19]
	ds_read_b64 v[30:31], v36 offset:5400
	ds_read2_b64 v[4:7], v4 offset0:97 offset1:172
	v_add_u32_e32 v23, s2, v23
	global_load_dwordx2 v[40:41], v[34:35], off offset:704
	s_waitcnt vmcnt(7) lgkmcnt(3)
	v_mul_f32_e32 v32, v21, v9
	v_mul_f32_e32 v9, v20, v9
	v_fmac_f32_e32 v32, v20, v8
	v_fma_f32 v20, v8, v21, -v9
	global_load_dwordx2 v[8:9], v[34:35], off offset:104
	s_waitcnt vmcnt(7) lgkmcnt(2)
	v_mul_f32_e32 v33, v1, v11
	v_mul_f32_e32 v11, v0, v11
	s_waitcnt vmcnt(6)
	v_mul_f32_e32 v37, v3, v13
	v_mul_f32_e32 v13, v2, v13
	v_fmac_f32_e32 v33, v0, v10
	v_fma_f32 v21, v10, v1, -v11
	v_fmac_f32_e32 v37, v2, v12
	v_fma_f32 v39, v12, v3, -v13
	v_cvt_f64_f32_e32 v[0:1], v32
	v_cvt_f64_f32_e32 v[2:3], v20
	;; [unrolled: 1-line block ×6, first 2 shown]
	v_mul_f64 v[0:1], v[0:1], s[0:1]
	v_mul_f64 v[2:3], v[2:3], s[0:1]
	;; [unrolled: 1-line block ×6, first 2 shown]
	v_cvt_f32_f64_e32 v0, v[0:1]
	v_cvt_f32_f64_e32 v1, v[2:3]
	;; [unrolled: 1-line block ×6, first 2 shown]
	global_store_dwordx2 v[16:17], v[0:1], off
	global_store_dwordx2 v[18:19], v[2:3], off
	global_store_dwordx2 v[22:23], v[10:11], off
	global_load_dwordx2 v[10:11], v[34:35], off offset:1304
	s_waitcnt vmcnt(9) lgkmcnt(0)
	v_mul_f32_e32 v38, v5, v15
	v_mul_f32_e32 v15, v4, v15
	v_fma_f32 v0, v14, v5, -v15
	v_cvt_f64_f32_e32 v[0:1], v0
	v_mul_f64 v[0:1], v[0:1], s[0:1]
	v_fmac_f32_e32 v38, v4, v14
	v_cvt_f32_f64_e32 v5, v[0:1]
	s_waitcnt vmcnt(8)
	v_mul_f32_e32 v0, v7, v25
	v_cvt_f64_f32_e32 v[38:39], v38
	v_fmac_f32_e32 v0, v6, v24
	v_mul_f64 v[38:39], v[38:39], s[0:1]
	v_mad_u64_u32 v[12:13], s[4:5], s8, v42, v[22:23]
	v_cvt_f64_f32_e32 v[0:1], v0
	v_cvt_f32_f64_e32 v4, v[38:39]
	v_add_u32_e32 v13, s2, v13
	v_mul_f64 v[0:1], v[0:1], s[0:1]
	global_store_dwordx2 v[12:13], v[4:5], off
	v_cvt_f32_f64_e32 v4, v[0:1]
	v_mul_f32_e32 v0, v6, v25
	v_fma_f32 v0, v24, v7, -v0
	v_cvt_f64_f32_e32 v[0:1], v0
	v_mul_f64 v[0:1], v[0:1], s[0:1]
	v_cvt_f32_f64_e32 v5, v[0:1]
	v_add_u32_e32 v0, 0x800, v36
	ds_read2_b64 v[0:3], v0 offset0:119 offset1:194
	v_mad_u64_u32 v[6:7], s[4:5], s8, v42, v[12:13]
	v_add_u32_e32 v7, s2, v7
	global_store_dwordx2 v[6:7], v[4:5], off
	s_waitcnt vmcnt(9) lgkmcnt(0)
	v_mul_f32_e32 v4, v1, v27
	v_fmac_f32_e32 v4, v0, v26
	v_mul_f32_e32 v0, v0, v27
	v_fma_f32 v0, v26, v1, -v0
	v_cvt_f64_f32_e32 v[4:5], v4
	v_cvt_f64_f32_e32 v[0:1], v0
	v_mul_f64 v[4:5], v[4:5], s[0:1]
	v_mul_f64 v[0:1], v[0:1], s[0:1]
	v_cvt_f32_f64_e32 v4, v[4:5]
	v_cvt_f32_f64_e32 v5, v[0:1]
	s_waitcnt vmcnt(8)
	v_mul_f32_e32 v0, v3, v29
	v_fmac_f32_e32 v0, v2, v28
	v_mad_u64_u32 v[6:7], s[4:5], s8, v42, v[6:7]
	v_cvt_f64_f32_e32 v[0:1], v0
	v_add_u32_e32 v7, s2, v7
	v_mul_f64 v[0:1], v[0:1], s[0:1]
	global_store_dwordx2 v[6:7], v[4:5], off
	v_cvt_f32_f64_e32 v4, v[0:1]
	v_mul_f32_e32 v0, v2, v29
	v_fma_f32 v0, v28, v3, -v0
	v_cvt_f64_f32_e32 v[0:1], v0
	v_mul_f64 v[0:1], v[0:1], s[0:1]
	v_cvt_f32_f64_e32 v5, v[0:1]
	v_add_u32_e32 v0, 0x1000, v36
	ds_read2_b64 v[0:3], v0 offset0:13 offset1:88
	v_mad_u64_u32 v[6:7], s[4:5], s8, v42, v[6:7]
	v_add_u32_e32 v7, s2, v7
	global_store_dwordx2 v[6:7], v[4:5], off
	s_waitcnt vmcnt(8) lgkmcnt(0)
	v_mul_f32_e32 v4, v1, v9
	v_fmac_f32_e32 v4, v0, v8
	v_mul_f32_e32 v0, v0, v9
	v_fma_f32 v0, v8, v1, -v0
	v_cvt_f64_f32_e32 v[4:5], v4
	v_cvt_f64_f32_e32 v[0:1], v0
	v_mul_f64 v[4:5], v[4:5], s[0:1]
	v_mul_f64 v[0:1], v[0:1], s[0:1]
	v_cvt_f32_f64_e32 v4, v[4:5]
	v_cvt_f32_f64_e32 v5, v[0:1]
	v_mad_u64_u32 v[0:1], s[4:5], s8, v42, v[6:7]
	v_add_u32_e32 v1, s2, v1
	global_store_dwordx2 v[0:1], v[4:5], off
	v_mul_f32_e32 v4, v3, v41
	v_fmac_f32_e32 v4, v2, v40
	v_mul_f32_e32 v2, v2, v41
	v_fma_f32 v2, v40, v3, -v2
	v_cvt_f64_f32_e32 v[4:5], v4
	v_cvt_f64_f32_e32 v[2:3], v2
	v_mul_f64 v[4:5], v[4:5], s[0:1]
	v_mul_f64 v[2:3], v[2:3], s[0:1]
	v_cvt_f32_f64_e32 v4, v[4:5]
	v_cvt_f32_f64_e32 v5, v[2:3]
	s_waitcnt vmcnt(5)
	v_mul_f32_e32 v2, v31, v11
	v_fmac_f32_e32 v2, v30, v10
	v_cvt_f64_f32_e32 v[2:3], v2
	v_mul_f64 v[2:3], v[2:3], s[0:1]
	v_mad_u64_u32 v[0:1], s[4:5], s8, v42, v[0:1]
	v_cvt_f32_f64_e32 v2, v[2:3]
	v_mul_f32_e32 v3, v30, v11
	v_add_u32_e32 v1, s2, v1
	v_fma_f32 v3, v10, v31, -v3
	global_store_dwordx2 v[0:1], v[4:5], off
	v_cvt_f64_f32_e32 v[4:5], v3
	v_mul_f64 v[4:5], v[4:5], s[0:1]
	v_mad_u64_u32 v[0:1], s[0:1], s8, v42, v[0:1]
	v_cvt_f32_f64_e32 v3, v[4:5]
	v_add_u32_e32 v1, s2, v1
	global_store_dwordx2 v[0:1], v[2:3], off
.LBB0_31:
	s_endpgm
	.section	.rodata,"a",@progbits
	.p2align	6, 0x0
	.amdhsa_kernel bluestein_single_fwd_len750_dim1_sp_op_CI_CI
		.amdhsa_group_segment_fixed_size 6000
		.amdhsa_private_segment_fixed_size 0
		.amdhsa_kernarg_size 104
		.amdhsa_user_sgpr_count 2
		.amdhsa_user_sgpr_dispatch_ptr 0
		.amdhsa_user_sgpr_queue_ptr 0
		.amdhsa_user_sgpr_kernarg_segment_ptr 1
		.amdhsa_user_sgpr_dispatch_id 0
		.amdhsa_user_sgpr_kernarg_preload_length 0
		.amdhsa_user_sgpr_kernarg_preload_offset 0
		.amdhsa_user_sgpr_private_segment_size 0
		.amdhsa_uses_dynamic_stack 0
		.amdhsa_enable_private_segment 0
		.amdhsa_system_sgpr_workgroup_id_x 1
		.amdhsa_system_sgpr_workgroup_id_y 0
		.amdhsa_system_sgpr_workgroup_id_z 0
		.amdhsa_system_sgpr_workgroup_info 0
		.amdhsa_system_vgpr_workitem_id 0
		.amdhsa_next_free_vgpr 93
		.amdhsa_next_free_sgpr 22
		.amdhsa_accum_offset 96
		.amdhsa_reserve_vcc 1
		.amdhsa_float_round_mode_32 0
		.amdhsa_float_round_mode_16_64 0
		.amdhsa_float_denorm_mode_32 3
		.amdhsa_float_denorm_mode_16_64 3
		.amdhsa_dx10_clamp 1
		.amdhsa_ieee_mode 1
		.amdhsa_fp16_overflow 0
		.amdhsa_tg_split 0
		.amdhsa_exception_fp_ieee_invalid_op 0
		.amdhsa_exception_fp_denorm_src 0
		.amdhsa_exception_fp_ieee_div_zero 0
		.amdhsa_exception_fp_ieee_overflow 0
		.amdhsa_exception_fp_ieee_underflow 0
		.amdhsa_exception_fp_ieee_inexact 0
		.amdhsa_exception_int_div_zero 0
	.end_amdhsa_kernel
	.text
.Lfunc_end0:
	.size	bluestein_single_fwd_len750_dim1_sp_op_CI_CI, .Lfunc_end0-bluestein_single_fwd_len750_dim1_sp_op_CI_CI
                                        ; -- End function
	.section	.AMDGPU.csdata,"",@progbits
; Kernel info:
; codeLenInByte = 7444
; NumSgprs: 28
; NumVgprs: 93
; NumAgprs: 0
; TotalNumVgprs: 93
; ScratchSize: 0
; MemoryBound: 0
; FloatMode: 240
; IeeeMode: 1
; LDSByteSize: 6000 bytes/workgroup (compile time only)
; SGPRBlocks: 3
; VGPRBlocks: 11
; NumSGPRsForWavesPerEU: 28
; NumVGPRsForWavesPerEU: 93
; AccumOffset: 96
; Occupancy: 5
; WaveLimiterHint : 1
; COMPUTE_PGM_RSRC2:SCRATCH_EN: 0
; COMPUTE_PGM_RSRC2:USER_SGPR: 2
; COMPUTE_PGM_RSRC2:TRAP_HANDLER: 0
; COMPUTE_PGM_RSRC2:TGID_X_EN: 1
; COMPUTE_PGM_RSRC2:TGID_Y_EN: 0
; COMPUTE_PGM_RSRC2:TGID_Z_EN: 0
; COMPUTE_PGM_RSRC2:TIDIG_COMP_CNT: 0
; COMPUTE_PGM_RSRC3_GFX90A:ACCUM_OFFSET: 23
; COMPUTE_PGM_RSRC3_GFX90A:TG_SPLIT: 0
	.text
	.p2alignl 6, 3212836864
	.fill 256, 4, 3212836864
	.type	__hip_cuid_fcb6d826fc9341e7,@object ; @__hip_cuid_fcb6d826fc9341e7
	.section	.bss,"aw",@nobits
	.globl	__hip_cuid_fcb6d826fc9341e7
__hip_cuid_fcb6d826fc9341e7:
	.byte	0                               ; 0x0
	.size	__hip_cuid_fcb6d826fc9341e7, 1

	.ident	"AMD clang version 19.0.0git (https://github.com/RadeonOpenCompute/llvm-project roc-6.4.0 25133 c7fe45cf4b819c5991fe208aaa96edf142730f1d)"
	.section	".note.GNU-stack","",@progbits
	.addrsig
	.addrsig_sym __hip_cuid_fcb6d826fc9341e7
	.amdgpu_metadata
---
amdhsa.kernels:
  - .agpr_count:     0
    .args:
      - .actual_access:  read_only
        .address_space:  global
        .offset:         0
        .size:           8
        .value_kind:     global_buffer
      - .actual_access:  read_only
        .address_space:  global
        .offset:         8
        .size:           8
        .value_kind:     global_buffer
      - .actual_access:  read_only
        .address_space:  global
        .offset:         16
        .size:           8
        .value_kind:     global_buffer
      - .actual_access:  read_only
        .address_space:  global
        .offset:         24
        .size:           8
        .value_kind:     global_buffer
      - .actual_access:  read_only
        .address_space:  global
        .offset:         32
        .size:           8
        .value_kind:     global_buffer
      - .offset:         40
        .size:           8
        .value_kind:     by_value
      - .address_space:  global
        .offset:         48
        .size:           8
        .value_kind:     global_buffer
      - .address_space:  global
        .offset:         56
        .size:           8
        .value_kind:     global_buffer
      - .address_space:  global
        .offset:         64
        .size:           8
        .value_kind:     global_buffer
      - .address_space:  global
        .offset:         72
        .size:           8
        .value_kind:     global_buffer
      - .offset:         80
        .size:           4
        .value_kind:     by_value
      - .address_space:  global
        .offset:         88
        .size:           8
        .value_kind:     global_buffer
      - .address_space:  global
        .offset:         96
        .size:           8
        .value_kind:     global_buffer
    .group_segment_fixed_size: 6000
    .kernarg_segment_align: 8
    .kernarg_segment_size: 104
    .language:       OpenCL C
    .language_version:
      - 2
      - 0
    .max_flat_workgroup_size: 250
    .name:           bluestein_single_fwd_len750_dim1_sp_op_CI_CI
    .private_segment_fixed_size: 0
    .sgpr_count:     28
    .sgpr_spill_count: 0
    .symbol:         bluestein_single_fwd_len750_dim1_sp_op_CI_CI.kd
    .uniform_work_group_size: 1
    .uses_dynamic_stack: false
    .vgpr_count:     93
    .vgpr_spill_count: 0
    .wavefront_size: 64
amdhsa.target:   amdgcn-amd-amdhsa--gfx950
amdhsa.version:
  - 1
  - 2
...

	.end_amdgpu_metadata
